;; amdgpu-corpus repo=ROCm/rocFFT kind=compiled arch=gfx906 opt=O3
	.text
	.amdgcn_target "amdgcn-amd-amdhsa--gfx906"
	.amdhsa_code_object_version 6
	.protected	fft_rtc_fwd_len22_factors_11_2_wgs_64_tpt_2_halfLds_dp_ip_CI_sbrr_dirReg ; -- Begin function fft_rtc_fwd_len22_factors_11_2_wgs_64_tpt_2_halfLds_dp_ip_CI_sbrr_dirReg
	.globl	fft_rtc_fwd_len22_factors_11_2_wgs_64_tpt_2_halfLds_dp_ip_CI_sbrr_dirReg
	.p2align	8
	.type	fft_rtc_fwd_len22_factors_11_2_wgs_64_tpt_2_halfLds_dp_ip_CI_sbrr_dirReg,@function
fft_rtc_fwd_len22_factors_11_2_wgs_64_tpt_2_halfLds_dp_ip_CI_sbrr_dirReg: ; @fft_rtc_fwd_len22_factors_11_2_wgs_64_tpt_2_halfLds_dp_ip_CI_sbrr_dirReg
; %bb.0:
	s_load_dwordx2 s[14:15], s[4:5], 0x18
	s_load_dwordx4 s[8:11], s[4:5], 0x0
	s_load_dwordx2 s[12:13], s[4:5], 0x50
	v_lshrrev_b32_e32 v62, 1, v0
	v_mov_b32_e32 v3, 0
	s_waitcnt lgkmcnt(0)
	s_load_dwordx2 s[2:3], s[14:15], 0x0
	v_cmp_lt_u64_e64 s[0:1], s[10:11], 2
	v_mov_b32_e32 v1, 0
	v_lshl_or_b32 v5, s6, 5, v62
	v_mov_b32_e32 v6, v3
	s_and_b64 vcc, exec, s[0:1]
	v_mov_b32_e32 v2, 0
	s_cbranch_vccnz .LBB0_8
; %bb.1:
	s_load_dwordx2 s[0:1], s[4:5], 0x10
	s_add_u32 s6, s14, 8
	s_addc_u32 s7, s15, 0
	v_mov_b32_e32 v1, 0
	v_mov_b32_e32 v2, 0
	s_waitcnt lgkmcnt(0)
	s_add_u32 s16, s0, 8
	s_addc_u32 s17, s1, 0
	s_mov_b64 s[18:19], 1
.LBB0_2:                                ; =>This Inner Loop Header: Depth=1
	s_load_dwordx2 s[20:21], s[16:17], 0x0
                                        ; implicit-def: $vgpr7_vgpr8
	s_waitcnt lgkmcnt(0)
	v_or_b32_e32 v4, s21, v6
	v_cmp_ne_u64_e32 vcc, 0, v[3:4]
	s_and_saveexec_b64 s[0:1], vcc
	s_xor_b64 s[22:23], exec, s[0:1]
	s_cbranch_execz .LBB0_4
; %bb.3:                                ;   in Loop: Header=BB0_2 Depth=1
	v_cvt_f32_u32_e32 v4, s20
	v_cvt_f32_u32_e32 v7, s21
	s_sub_u32 s0, 0, s20
	s_subb_u32 s1, 0, s21
	v_mac_f32_e32 v4, 0x4f800000, v7
	v_rcp_f32_e32 v4, v4
	v_mul_f32_e32 v4, 0x5f7ffffc, v4
	v_mul_f32_e32 v7, 0x2f800000, v4
	v_trunc_f32_e32 v7, v7
	v_mac_f32_e32 v4, 0xcf800000, v7
	v_cvt_u32_f32_e32 v7, v7
	v_cvt_u32_f32_e32 v4, v4
	v_mul_lo_u32 v8, s0, v7
	v_mul_hi_u32 v9, s0, v4
	v_mul_lo_u32 v11, s1, v4
	v_mul_lo_u32 v10, s0, v4
	v_add_u32_e32 v8, v9, v8
	v_add_u32_e32 v8, v8, v11
	v_mul_hi_u32 v9, v4, v10
	v_mul_lo_u32 v11, v4, v8
	v_mul_hi_u32 v13, v4, v8
	v_mul_hi_u32 v12, v7, v10
	v_mul_lo_u32 v10, v7, v10
	v_mul_hi_u32 v14, v7, v8
	v_add_co_u32_e32 v9, vcc, v9, v11
	v_addc_co_u32_e32 v11, vcc, 0, v13, vcc
	v_mul_lo_u32 v8, v7, v8
	v_add_co_u32_e32 v9, vcc, v9, v10
	v_addc_co_u32_e32 v9, vcc, v11, v12, vcc
	v_addc_co_u32_e32 v10, vcc, 0, v14, vcc
	v_add_co_u32_e32 v8, vcc, v9, v8
	v_addc_co_u32_e32 v9, vcc, 0, v10, vcc
	v_add_co_u32_e32 v4, vcc, v4, v8
	v_addc_co_u32_e32 v7, vcc, v7, v9, vcc
	v_mul_lo_u32 v8, s0, v7
	v_mul_hi_u32 v9, s0, v4
	v_mul_lo_u32 v10, s1, v4
	v_mul_lo_u32 v11, s0, v4
	v_add_u32_e32 v8, v9, v8
	v_add_u32_e32 v8, v8, v10
	v_mul_lo_u32 v12, v4, v8
	v_mul_hi_u32 v13, v4, v11
	v_mul_hi_u32 v14, v4, v8
	;; [unrolled: 1-line block ×3, first 2 shown]
	v_mul_lo_u32 v11, v7, v11
	v_mul_hi_u32 v9, v7, v8
	v_add_co_u32_e32 v12, vcc, v13, v12
	v_addc_co_u32_e32 v13, vcc, 0, v14, vcc
	v_mul_lo_u32 v8, v7, v8
	v_add_co_u32_e32 v11, vcc, v12, v11
	v_addc_co_u32_e32 v10, vcc, v13, v10, vcc
	v_addc_co_u32_e32 v9, vcc, 0, v9, vcc
	v_add_co_u32_e32 v8, vcc, v10, v8
	v_addc_co_u32_e32 v9, vcc, 0, v9, vcc
	v_add_co_u32_e32 v4, vcc, v4, v8
	v_addc_co_u32_e32 v9, vcc, v7, v9, vcc
	v_mad_u64_u32 v[7:8], s[0:1], v5, v9, 0
	v_mul_hi_u32 v10, v5, v4
	v_add_co_u32_e32 v11, vcc, v10, v7
	v_addc_co_u32_e32 v12, vcc, 0, v8, vcc
	v_mad_u64_u32 v[7:8], s[0:1], v6, v4, 0
	v_mad_u64_u32 v[9:10], s[0:1], v6, v9, 0
	v_add_co_u32_e32 v4, vcc, v11, v7
	v_addc_co_u32_e32 v4, vcc, v12, v8, vcc
	v_addc_co_u32_e32 v7, vcc, 0, v10, vcc
	v_add_co_u32_e32 v4, vcc, v4, v9
	v_addc_co_u32_e32 v9, vcc, 0, v7, vcc
	v_mul_lo_u32 v10, s21, v4
	v_mul_lo_u32 v11, s20, v9
	v_mad_u64_u32 v[7:8], s[0:1], s20, v4, 0
	v_add3_u32 v8, v8, v11, v10
	v_sub_u32_e32 v10, v6, v8
	v_mov_b32_e32 v11, s21
	v_sub_co_u32_e32 v7, vcc, v5, v7
	v_subb_co_u32_e64 v10, s[0:1], v10, v11, vcc
	v_subrev_co_u32_e64 v11, s[0:1], s20, v7
	v_subbrev_co_u32_e64 v10, s[0:1], 0, v10, s[0:1]
	v_cmp_le_u32_e64 s[0:1], s21, v10
	v_cndmask_b32_e64 v12, 0, -1, s[0:1]
	v_cmp_le_u32_e64 s[0:1], s20, v11
	v_cndmask_b32_e64 v11, 0, -1, s[0:1]
	v_cmp_eq_u32_e64 s[0:1], s21, v10
	v_cndmask_b32_e64 v10, v12, v11, s[0:1]
	v_add_co_u32_e64 v11, s[0:1], 2, v4
	v_addc_co_u32_e64 v12, s[0:1], 0, v9, s[0:1]
	v_add_co_u32_e64 v13, s[0:1], 1, v4
	v_addc_co_u32_e64 v14, s[0:1], 0, v9, s[0:1]
	v_subb_co_u32_e32 v8, vcc, v6, v8, vcc
	v_cmp_ne_u32_e64 s[0:1], 0, v10
	v_cmp_le_u32_e32 vcc, s21, v8
	v_cndmask_b32_e64 v10, v14, v12, s[0:1]
	v_cndmask_b32_e64 v12, 0, -1, vcc
	v_cmp_le_u32_e32 vcc, s20, v7
	v_cndmask_b32_e64 v7, 0, -1, vcc
	v_cmp_eq_u32_e32 vcc, s21, v8
	v_cndmask_b32_e32 v7, v12, v7, vcc
	v_cmp_ne_u32_e32 vcc, 0, v7
	v_cndmask_b32_e64 v7, v13, v11, s[0:1]
	v_cndmask_b32_e32 v8, v9, v10, vcc
	v_cndmask_b32_e32 v7, v4, v7, vcc
.LBB0_4:                                ;   in Loop: Header=BB0_2 Depth=1
	s_andn2_saveexec_b64 s[0:1], s[22:23]
	s_cbranch_execz .LBB0_6
; %bb.5:                                ;   in Loop: Header=BB0_2 Depth=1
	v_cvt_f32_u32_e32 v4, s20
	s_sub_i32 s22, 0, s20
	v_rcp_iflag_f32_e32 v4, v4
	v_mul_f32_e32 v4, 0x4f7ffffe, v4
	v_cvt_u32_f32_e32 v4, v4
	v_mul_lo_u32 v7, s22, v4
	v_mul_hi_u32 v7, v4, v7
	v_add_u32_e32 v4, v4, v7
	v_mul_hi_u32 v4, v5, v4
	v_mul_lo_u32 v7, v4, s20
	v_add_u32_e32 v8, 1, v4
	v_sub_u32_e32 v7, v5, v7
	v_subrev_u32_e32 v9, s20, v7
	v_cmp_le_u32_e32 vcc, s20, v7
	v_cndmask_b32_e32 v7, v7, v9, vcc
	v_cndmask_b32_e32 v4, v4, v8, vcc
	v_add_u32_e32 v8, 1, v4
	v_cmp_le_u32_e32 vcc, s20, v7
	v_cndmask_b32_e32 v7, v4, v8, vcc
	v_mov_b32_e32 v8, v3
.LBB0_6:                                ;   in Loop: Header=BB0_2 Depth=1
	s_or_b64 exec, exec, s[0:1]
	v_mul_lo_u32 v4, v8, s20
	v_mul_lo_u32 v11, v7, s21
	v_mad_u64_u32 v[9:10], s[0:1], v7, s20, 0
	s_load_dwordx2 s[0:1], s[6:7], 0x0
	s_add_u32 s18, s18, 1
	v_add3_u32 v4, v10, v11, v4
	v_sub_co_u32_e32 v5, vcc, v5, v9
	v_subb_co_u32_e32 v4, vcc, v6, v4, vcc
	s_waitcnt lgkmcnt(0)
	v_mul_lo_u32 v4, s0, v4
	v_mul_lo_u32 v6, s1, v5
	v_mad_u64_u32 v[1:2], s[0:1], s0, v5, v[1:2]
	s_addc_u32 s19, s19, 0
	s_add_u32 s6, s6, 8
	v_add3_u32 v2, v6, v2, v4
	v_mov_b32_e32 v4, s10
	v_mov_b32_e32 v5, s11
	s_addc_u32 s7, s7, 0
	v_cmp_ge_u64_e32 vcc, s[18:19], v[4:5]
	s_add_u32 s16, s16, 8
	s_addc_u32 s17, s17, 0
	s_cbranch_vccnz .LBB0_9
; %bb.7:                                ;   in Loop: Header=BB0_2 Depth=1
	v_mov_b32_e32 v5, v7
	v_mov_b32_e32 v6, v8
	s_branch .LBB0_2
.LBB0_8:
	v_mov_b32_e32 v8, v6
	v_mov_b32_e32 v7, v5
.LBB0_9:
	s_lshl_b64 s[0:1], s[10:11], 3
	s_add_u32 s0, s14, s0
	s_addc_u32 s1, s15, s1
	s_load_dwordx2 s[6:7], s[0:1], 0x0
	s_load_dwordx2 s[10:11], s[4:5], 0x20
	v_and_b32_e32 v79, 1, v0
	v_or_b32_e32 v83, 2, v79
	v_or_b32_e32 v82, 4, v79
	s_waitcnt lgkmcnt(0)
	v_mul_lo_u32 v3, s6, v8
	v_mul_lo_u32 v4, s7, v7
	v_mad_u64_u32 v[1:2], s[0:1], s6, v7, v[1:2]
	v_cmp_gt_u64_e32 vcc, s[10:11], v[7:8]
	v_cmp_le_u64_e64 s[0:1], s[10:11], v[7:8]
	v_add3_u32 v2, v4, v2, v3
	v_or_b32_e32 v81, 6, v79
	v_or_b32_e32 v80, 8, v79
                                        ; implicit-def: $vgpr60
                                        ; implicit-def: $vgpr63
                                        ; implicit-def: $vgpr64
                                        ; implicit-def: $vgpr61
	s_and_saveexec_b64 s[4:5], s[0:1]
	s_xor_b64 s[0:1], exec, s[4:5]
; %bb.10:
	v_or_b32_e32 v60, 2, v79
	v_or_b32_e32 v63, 4, v79
	;; [unrolled: 1-line block ×4, first 2 shown]
; %bb.11:
	s_or_saveexec_b64 s[4:5], s[0:1]
	v_mul_lo_u32 v59, s3, v79
	v_mul_lo_u32 v58, s2, v79
	v_lshlrev_b64 v[56:57], 4, v[1:2]
                                        ; implicit-def: $vgpr18_vgpr19
                                        ; implicit-def: $vgpr22_vgpr23
                                        ; implicit-def: $vgpr30_vgpr31
                                        ; implicit-def: $vgpr14_vgpr15
                                        ; implicit-def: $vgpr6_vgpr7
                                        ; implicit-def: $vgpr2_vgpr3
                                        ; implicit-def: $vgpr10_vgpr11
                                        ; implicit-def: $vgpr34_vgpr35
                                        ; implicit-def: $vgpr38_vgpr39
                                        ; implicit-def: $vgpr46_vgpr47
                                        ; implicit-def: $vgpr26_vgpr27
	s_xor_b64 exec, exec, s[4:5]
	s_cbranch_execz .LBB0_13
; %bb.12:
	v_mad_u64_u32 v[0:1], s[0:1], s2, v83, 0
	v_mov_b32_e32 v2, s13
	v_add_co_u32_e64 v7, s[0:1], s12, v56
	v_addc_co_u32_e64 v8, s[0:1], v2, v57, s[0:1]
	v_lshlrev_b64 v[2:3], 4, v[58:59]
	v_or_b32_e32 v9, 10, v79
	v_mad_u64_u32 v[4:5], s[0:1], s3, v83, v[1:2]
	v_mad_u64_u32 v[5:6], s[0:1], s2, v82, 0
	v_add_co_u32_e64 v40, s[0:1], v7, v2
	v_mov_b32_e32 v2, v6
	v_addc_co_u32_e64 v41, s[0:1], v8, v3, s[0:1]
	v_mad_u64_u32 v[2:3], s[0:1], s3, v82, v[2:3]
	v_mov_b32_e32 v1, v4
	v_mad_u64_u32 v[3:4], s[0:1], s2, v81, 0
	v_lshlrev_b64 v[0:1], 4, v[0:1]
	v_mov_b32_e32 v6, v2
	v_add_co_u32_e64 v42, s[0:1], v7, v0
	v_mov_b32_e32 v2, v4
	v_addc_co_u32_e64 v43, s[0:1], v8, v1, s[0:1]
	v_lshlrev_b64 v[0:1], 4, v[5:6]
	v_mad_u64_u32 v[4:5], s[0:1], s3, v81, v[2:3]
	v_mad_u64_u32 v[5:6], s[0:1], s2, v80, 0
	v_add_co_u32_e64 v48, s[0:1], v7, v0
	v_mov_b32_e32 v2, v6
	v_addc_co_u32_e64 v49, s[0:1], v8, v1, s[0:1]
	v_lshlrev_b64 v[0:1], 4, v[3:4]
	v_mad_u64_u32 v[2:3], s[0:1], s3, v80, v[2:3]
	v_mad_u64_u32 v[3:4], s[0:1], s2, v9, 0
	v_add_co_u32_e64 v50, s[0:1], v7, v0
	v_mov_b32_e32 v6, v2
	v_mov_b32_e32 v2, v4
	v_addc_co_u32_e64 v51, s[0:1], v8, v1, s[0:1]
	v_lshlrev_b64 v[0:1], 4, v[5:6]
	v_mad_u64_u32 v[4:5], s[0:1], s3, v9, v[2:3]
	v_or_b32_e32 v9, 12, v79
	v_mad_u64_u32 v[5:6], s[0:1], s2, v9, 0
	v_add_co_u32_e64 v52, s[0:1], v7, v0
	v_mov_b32_e32 v2, v6
	v_addc_co_u32_e64 v53, s[0:1], v8, v1, s[0:1]
	v_lshlrev_b64 v[0:1], 4, v[3:4]
	v_mad_u64_u32 v[2:3], s[0:1], s3, v9, v[2:3]
	v_or_b32_e32 v9, 14, v79
	v_mad_u64_u32 v[3:4], s[0:1], s2, v9, 0
	v_add_co_u32_e64 v54, s[0:1], v7, v0
	v_mov_b32_e32 v6, v2
	v_mov_b32_e32 v2, v4
	v_addc_co_u32_e64 v55, s[0:1], v8, v1, s[0:1]
	v_lshlrev_b64 v[0:1], 4, v[5:6]
	v_mad_u64_u32 v[4:5], s[0:1], s3, v9, v[2:3]
	v_or_b32_e32 v9, 16, v79
	v_mad_u64_u32 v[5:6], s[0:1], s2, v9, 0
	v_add_co_u32_e64 v60, s[0:1], v7, v0
	v_mov_b32_e32 v2, v6
	v_addc_co_u32_e64 v61, s[0:1], v8, v1, s[0:1]
	v_lshlrev_b64 v[0:1], 4, v[3:4]
	v_mad_u64_u32 v[2:3], s[0:1], s3, v9, v[2:3]
	v_or_b32_e32 v9, 18, v79
	v_mad_u64_u32 v[3:4], s[0:1], s2, v9, 0
	v_add_co_u32_e64 v63, s[0:1], v7, v0
	v_mov_b32_e32 v6, v2
	v_mov_b32_e32 v2, v4
	v_addc_co_u32_e64 v64, s[0:1], v8, v1, s[0:1]
	v_lshlrev_b64 v[0:1], 4, v[5:6]
	v_mad_u64_u32 v[4:5], s[0:1], s3, v9, v[2:3]
	v_or_b32_e32 v9, 20, v79
	v_mad_u64_u32 v[5:6], s[0:1], s2, v9, 0
	v_add_co_u32_e64 v65, s[0:1], v7, v0
	v_mov_b32_e32 v2, v6
	v_addc_co_u32_e64 v66, s[0:1], v8, v1, s[0:1]
	v_lshlrev_b64 v[0:1], 4, v[3:4]
	v_mad_u64_u32 v[2:3], s[0:1], s3, v9, v[2:3]
	v_add_co_u32_e64 v67, s[0:1], v7, v0
	v_mov_b32_e32 v6, v2
	v_addc_co_u32_e64 v68, s[0:1], v8, v1, s[0:1]
	v_lshlrev_b64 v[0:1], 4, v[5:6]
	v_add_co_u32_e64 v69, s[0:1], v7, v0
	v_addc_co_u32_e64 v70, s[0:1], v8, v1, s[0:1]
	global_load_dwordx4 v[24:27], v[40:41], off
	global_load_dwordx4 v[44:47], v[42:43], off
	;; [unrolled: 1-line block ×11, first 2 shown]
	v_mov_b32_e32 v61, v80
	v_mov_b32_e32 v64, v81
	v_mov_b32_e32 v63, v82
	v_mov_b32_e32 v60, v83
.LBB0_13:
	s_or_b64 exec, exec, s[4:5]
	s_waitcnt vmcnt(0)
	v_add_f64 v[85:86], v[16:17], v[44:45]
	s_mov_b32 s4, 0x8764f0ba
	s_mov_b32 s5, 0x3feaeb8c
	v_add_f64 v[75:76], v[46:47], -v[18:19]
	v_add_f64 v[87:88], v[20:21], v[36:37]
	s_mov_b32 s20, 0xf8bb580b
	s_mov_b32 s6, 0xd9c712b6
	;; [unrolled: 1-line block ×3, first 2 shown]
	v_mul_f64 v[77:78], v[85:86], s[4:5]
	s_mov_b32 s7, 0x3fda9628
	v_add_f64 v[69:70], v[38:39], -v[22:23]
	v_add_f64 v[73:74], v[28:29], v[32:33]
	v_mul_f64 v[71:72], v[87:88], s[6:7]
	s_mov_b32 s16, 0x8eee2c13
	s_mov_b32 s10, 0x640f44db
	;; [unrolled: 1-line block ×3, first 2 shown]
	v_fma_f64 v[40:41], v[75:76], s[20:21], v[77:78]
	s_mov_b32 s11, 0xbfc2375f
	v_add_f64 v[65:66], v[34:35], -v[30:31]
	v_mul_f64 v[67:68], v[73:74], s[10:11]
	v_fma_f64 v[42:43], v[69:70], s[16:17], v[71:72]
	v_add_f64 v[54:55], v[12:13], v[8:9]
	s_mov_b32 s22, 0x43842ef
	s_mov_b32 s14, 0x7f775887
	v_add_f64 v[40:41], v[24:25], v[40:41]
	s_mov_b32 s23, 0x3fefac9e
	s_mov_b32 s15, 0xbfe4f49e
	v_add_f64 v[50:51], v[10:11], -v[14:15]
	s_mov_b32 s0, 0xbb3a28a1
	v_mul_f64 v[52:53], v[54:55], s[14:15]
	s_mov_b32 s1, 0x3fe82f19
	v_add_f64 v[48:49], v[4:5], v[0:1]
	v_add_f64 v[40:41], v[42:43], v[40:41]
	v_fma_f64 v[42:43], v[65:66], s[22:23], v[67:68]
	s_mov_b32 s18, 0x9bcd5057
	s_mov_b32 s19, 0xbfeeb42a
	;; [unrolled: 1-line block ×4, first 2 shown]
	v_mul_u32_u24_e32 v62, 22, v62
	s_movk_i32 s26, 0x58
	v_lshl_add_u32 v62, v62, 3, 0
	v_add_f64 v[40:41], v[42:43], v[40:41]
	v_fma_f64 v[42:43], v[50:51], s[0:1], v[52:53]
	v_mad_u32_u24 v84, v79, s26, v62
	v_mul_f64 v[93:94], v[87:88], s[14:15]
	v_mul_f64 v[99:100], v[87:88], s[18:19]
	s_mov_b32 s27, 0xbfd207e7
	s_mov_b32 s26, s24
	;; [unrolled: 1-line block ×4, first 2 shown]
	v_add_f64 v[89:90], v[42:43], v[40:41]
	v_add_f64 v[40:41], v[2:3], -v[6:7]
	v_mul_f64 v[42:43], v[48:49], s[18:19]
	v_fma_f64 v[95:96], v[69:70], s[0:1], v[93:94]
	v_fma_f64 v[101:102], v[69:70], s[26:27], v[99:100]
	s_mov_b32 s29, 0xbfefac9e
	s_mov_b32 s28, s22
	;; [unrolled: 1-line block ×5, first 2 shown]
	v_fma_f64 v[91:92], v[40:41], s[24:25], v[42:43]
	s_mov_b32 s34, s0
	s_movk_i32 s33, 0xffb0
	v_add_f64 v[89:90], v[91:92], v[89:90]
	v_add_f64 v[91:92], v[44:45], v[24:25]
	v_add_f64 v[91:92], v[36:37], v[91:92]
	v_add_f64 v[91:92], v[32:33], v[91:92]
	v_add_f64 v[91:92], v[8:9], v[91:92]
	v_add_f64 v[91:92], v[0:1], v[91:92]
	v_add_f64 v[91:92], v[4:5], v[91:92]
	v_add_f64 v[91:92], v[12:13], v[91:92]
	v_add_f64 v[91:92], v[28:29], v[91:92]
	v_add_f64 v[91:92], v[20:21], v[91:92]
	v_add_f64 v[91:92], v[16:17], v[91:92]
	ds_write2_b64 v84, v[91:92], v[89:90] offset1:1
	v_mul_f64 v[89:90], v[85:86], s[6:7]
	v_fma_f64 v[91:92], v[75:76], s[16:17], v[89:90]
	v_add_f64 v[91:92], v[24:25], v[91:92]
	v_add_f64 v[91:92], v[95:96], v[91:92]
	v_mul_f64 v[95:96], v[85:86], s[10:11]
	v_fma_f64 v[97:98], v[75:76], s[22:23], v[95:96]
	v_add_f64 v[97:98], v[24:25], v[97:98]
	v_add_f64 v[97:98], v[101:102], v[97:98]
	v_mul_f64 v[101:102], v[73:74], s[18:19]
	v_fma_f64 v[103:104], v[65:66], s[26:27], v[101:102]
	v_add_f64 v[91:92], v[103:104], v[91:92]
	v_mul_f64 v[103:104], v[73:74], s[6:7]
	v_fma_f64 v[105:106], v[65:66], s[36:37], v[103:104]
	;; [unrolled: 3-line block ×6, first 2 shown]
	v_add_f64 v[97:98], v[113:114], v[97:98]
	v_mul_f64 v[113:114], v[87:88], s[10:11]
	v_mul_f64 v[87:88], v[87:88], s[4:5]
	ds_write2_b64 v84, v[91:92], v[97:98] offset0:2 offset1:3
	v_mul_f64 v[91:92], v[85:86], s[14:15]
	v_fma_f64 v[115:116], v[69:70], s[28:29], v[113:114]
	v_mul_f64 v[85:86], v[85:86], s[18:19]
	v_fma_f64 v[117:118], v[69:70], s[30:31], v[87:88]
	v_fma_f64 v[87:88], v[69:70], s[20:21], v[87:88]
	;; [unrolled: 1-line block ×5, first 2 shown]
	v_add_f64 v[97:98], v[24:25], v[97:98]
	v_add_f64 v[91:92], v[24:25], v[91:92]
	v_add_f64 v[97:98], v[115:116], v[97:98]
	v_fma_f64 v[115:116], v[75:76], s[24:25], v[85:86]
	v_fma_f64 v[85:86], v[75:76], s[26:27], v[85:86]
	v_add_f64 v[91:92], v[113:114], v[91:92]
	v_add_f64 v[115:116], v[24:25], v[115:116]
	;; [unrolled: 1-line block ×5, first 2 shown]
	v_fma_f64 v[87:88], v[75:76], s[36:37], v[89:90]
	v_fma_f64 v[89:90], v[69:70], s[34:35], v[93:94]
	;; [unrolled: 1-line block ×3, first 2 shown]
	v_add_f64 v[87:88], v[24:25], v[87:88]
	v_add_f64 v[87:88], v[89:90], v[87:88]
	v_fma_f64 v[89:90], v[75:76], s[28:29], v[95:96]
	v_fma_f64 v[75:76], v[75:76], s[30:31], v[77:78]
	v_add_f64 v[77:78], v[24:25], v[89:90]
	v_fma_f64 v[89:90], v[69:70], s[24:25], v[99:100]
	v_fma_f64 v[69:70], v[69:70], s[36:37], v[71:72]
	v_add_f64 v[24:25], v[24:25], v[75:76]
	v_mul_f64 v[71:72], v[73:74], s[14:15]
	v_add_f64 v[77:78], v[89:90], v[77:78]
	v_fma_f64 v[89:90], v[65:66], s[24:25], v[101:102]
	v_add_f64 v[24:25], v[69:70], v[24:25]
	v_mul_f64 v[69:70], v[73:74], s[4:5]
	v_fma_f64 v[75:76], v[65:66], s[0:1], v[71:72]
	v_fma_f64 v[71:72], v[65:66], s[34:35], v[71:72]
	v_cmp_eq_u32_e64 s[0:1], 0, v79
	v_add_f64 v[77:78], v[93:94], v[77:78]
	v_fma_f64 v[73:74], v[65:66], s[20:21], v[69:70]
	v_fma_f64 v[69:70], v[65:66], s[30:31], v[69:70]
	v_fma_f64 v[65:66], v[65:66], s[28:29], v[67:68]
	v_add_f64 v[71:72], v[71:72], v[85:86]
	v_add_f64 v[67:68], v[73:74], v[97:98]
	;; [unrolled: 1-line block ×4, first 2 shown]
	v_mul_f64 v[65:66], v[54:55], s[18:19]
	v_mul_f64 v[54:55], v[54:55], s[6:7]
	v_add_f64 v[69:70], v[69:70], v[91:92]
	v_add_f64 v[75:76], v[89:90], v[87:88]
	v_fma_f64 v[89:90], v[50:51], s[22:23], v[105:106]
	v_fma_f64 v[91:92], v[50:51], s[30:31], v[107:108]
	;; [unrolled: 1-line block ×7, first 2 shown]
	v_add_f64 v[52:53], v[85:86], v[67:68]
	v_add_f64 v[65:66], v[65:66], v[69:70]
	;; [unrolled: 1-line block ×5, first 2 shown]
	v_mul_f64 v[50:51], v[48:49], s[6:7]
	v_mul_f64 v[48:49], v[48:49], s[10:11]
	v_add_f64 v[54:55], v[54:55], v[71:72]
	v_add_f64 v[71:72], v[91:92], v[77:78]
	v_fma_f64 v[77:78], v[40:41], s[20:21], v[109:110]
	v_fma_f64 v[85:86], v[40:41], s[34:35], v[111:112]
	;; [unrolled: 1-line block ×7, first 2 shown]
	v_add_f64 v[42:43], v[73:74], v[52:53]
	v_add_f64 v[52:53], v[75:76], v[67:68]
	;; [unrolled: 1-line block ×7, first 2 shown]
	ds_write2_b64 v84, v[42:43], v[52:53] offset0:4 offset1:5
	ds_write2_b64 v84, v[48:49], v[50:51] offset0:6 offset1:7
	ds_write2_b64 v84, v[65:66], v[54:55] offset0:8 offset1:9
	ds_write_b64 v84, v[40:41] offset:80
	v_lshl_add_u32 v65, v79, 3, v62
	s_waitcnt lgkmcnt(0)
	; wave barrier
	s_waitcnt lgkmcnt(0)
	v_mad_i32_i24 v76, v79, s33, v84
	v_lshl_add_u32 v77, v60, 3, v62
	v_lshl_add_u32 v78, v63, 3, v62
	;; [unrolled: 1-line block ×4, first 2 shown]
	ds_read_b64 v[68:69], v65
	ds_read_b64 v[24:25], v78
	;; [unrolled: 1-line block ×5, first 2 shown]
	ds_read_b64 v[74:75], v76 offset:152
	ds_read2_b64 v[48:51], v76 offset0:11 offset1:13
	ds_read2_b64 v[52:55], v76 offset0:15 offset1:17
	s_and_saveexec_b64 s[38:39], s[0:1]
	s_cbranch_execz .LBB0_15
; %bb.14:
	ds_read2_b64 v[40:43], v62 offset0:10 offset1:21
.LBB0_15:
	s_or_b64 exec, exec, s[38:39]
	v_add_f64 v[87:88], v[46:47], v[26:27]
	v_add_f64 v[28:29], v[32:33], -v[28:29]
	v_add_f64 v[16:17], v[44:45], -v[16:17]
	v_add_f64 v[44:45], v[18:19], v[46:47]
	v_add_f64 v[46:47], v[22:23], v[38:39]
	v_add_f64 v[20:21], v[36:37], -v[20:21]
	v_add_f64 v[36:37], v[30:31], v[34:35]
	v_add_f64 v[8:9], v[8:9], -v[12:13]
	v_add_f64 v[32:33], v[38:39], v[87:88]
	v_mul_f64 v[99:100], v[28:29], s[28:29]
	v_mul_f64 v[38:39], v[16:17], s[30:31]
	;; [unrolled: 1-line block ×7, first 2 shown]
	v_add_f64 v[32:33], v[34:35], v[32:33]
	v_mul_f64 v[95:96], v[20:21], s[34:35]
	v_fma_f64 v[105:106], v[44:45], s[4:5], v[38:39]
	v_fma_f64 v[38:39], v[44:45], s[4:5], -v[38:39]
	v_fma_f64 v[107:108], v[44:45], s[6:7], v[87:88]
	v_mul_f64 v[97:98], v[20:21], s[24:25]
	v_mul_f64 v[34:35], v[20:21], s[22:23]
	;; [unrolled: 1-line block ×3, first 2 shown]
	v_add_f64 v[32:33], v[10:11], v[32:33]
	v_mul_f64 v[101:102], v[28:29], s[24:25]
	v_fma_f64 v[87:88], v[44:45], s[6:7], -v[87:88]
	v_fma_f64 v[109:110], v[44:45], s[10:11], v[89:90]
	v_fma_f64 v[89:90], v[44:45], s[10:11], -v[89:90]
	v_fma_f64 v[111:112], v[44:45], s[14:15], v[91:92]
	v_fma_f64 v[91:92], v[44:45], s[14:15], -v[91:92]
	v_fma_f64 v[113:114], v[44:45], s[18:19], v[16:17]
	v_add_f64 v[32:33], v[2:3], v[32:33]
	v_fma_f64 v[16:17], v[44:45], s[18:19], -v[16:17]
	v_fma_f64 v[44:45], v[46:47], s[6:7], v[93:94]
	v_fma_f64 v[93:94], v[46:47], s[6:7], -v[93:94]
	v_fma_f64 v[115:116], v[46:47], s[14:15], v[95:96]
	v_add_f64 v[105:106], v[26:27], v[105:106]
	v_add_f64 v[38:39], v[26:27], v[38:39]
	;; [unrolled: 1-line block ×4, first 2 shown]
	v_mul_f64 v[103:104], v[28:29], s[16:17]
	v_fma_f64 v[95:96], v[46:47], s[14:15], -v[95:96]
	v_fma_f64 v[117:118], v[46:47], s[18:19], v[97:98]
	v_fma_f64 v[97:98], v[46:47], s[18:19], -v[97:98]
	v_fma_f64 v[119:120], v[46:47], s[10:11], v[34:35]
	;; [unrolled: 2-line block ×3, first 2 shown]
	v_add_f64 v[32:33], v[14:15], v[32:33]
	v_fma_f64 v[20:21], v[46:47], s[4:5], -v[20:21]
	v_fma_f64 v[46:47], v[36:37], s[10:11], v[99:100]
	v_fma_f64 v[99:100], v[36:37], s[10:11], -v[99:100]
	v_fma_f64 v[123:124], v[36:37], s[18:19], v[101:102]
	v_add_f64 v[87:88], v[26:27], v[87:88]
	v_add_f64 v[109:110], v[26:27], v[109:110]
	;; [unrolled: 1-line block ×17, first 2 shown]
	v_mul_f64 v[12:13], v[28:29], s[30:31]
	v_fma_f64 v[26:27], v[36:37], s[6:7], v[103:104]
	v_add_f64 v[18:19], v[18:19], v[22:23]
	v_add_f64 v[22:23], v[99:100], v[38:39]
	;; [unrolled: 1-line block ×3, first 2 shown]
	v_mul_f64 v[28:29], v[28:29], s[34:35]
	v_fma_f64 v[44:45], v[36:37], s[6:7], -v[103:104]
	v_add_f64 v[10:11], v[14:15], v[10:11]
	v_mul_f64 v[14:15], v[8:9], s[34:35]
	v_fma_f64 v[101:102], v[36:37], s[18:19], -v[101:102]
	v_add_f64 v[34:35], v[34:35], v[91:92]
	v_fma_f64 v[46:47], v[36:37], s[4:5], v[12:13]
	v_add_f64 v[26:27], v[26:27], v[87:88]
	v_fma_f64 v[12:13], v[36:37], s[4:5], -v[12:13]
	v_mul_f64 v[87:88], v[8:9], s[22:23]
	v_fma_f64 v[93:94], v[36:37], s[14:15], v[28:29]
	v_fma_f64 v[28:29], v[36:37], s[14:15], -v[28:29]
	v_add_f64 v[36:37], v[44:45], v[89:90]
	v_fma_f64 v[44:45], v[10:11], s[14:15], v[14:15]
	v_add_f64 v[32:33], v[119:120], v[32:33]
	v_fma_f64 v[14:15], v[10:11], s[14:15], -v[14:15]
	v_add_f64 v[12:13], v[12:13], v[34:35]
	v_fma_f64 v[34:35], v[10:11], s[10:11], v[87:88]
	v_add_f64 v[0:1], v[0:1], -v[4:5]
	v_add_f64 v[16:17], v[28:29], v[16:17]
	v_mul_f64 v[28:29], v[8:9], s[30:31]
	v_add_f64 v[20:21], v[44:45], v[20:21]
	v_mul_f64 v[44:45], v[8:9], s[26:27]
	v_add_f64 v[30:31], v[101:102], v[30:31]
	v_add_f64 v[32:33], v[46:47], v[32:33]
	;; [unrolled: 1-line block ×4, first 2 shown]
	v_fma_f64 v[22:23], v[10:11], s[10:11], -v[87:88]
	v_mul_f64 v[8:9], v[8:9], s[16:17]
	v_fma_f64 v[34:35], v[10:11], s[4:5], v[28:29]
	v_fma_f64 v[28:29], v[10:11], s[4:5], -v[28:29]
	v_fma_f64 v[38:39], v[10:11], s[18:19], v[44:45]
	v_add_f64 v[2:3], v[6:7], v[2:3]
	v_mul_f64 v[6:7], v[0:1], s[26:27]
	v_add_f64 v[91:92], v[121:122], v[111:112]
	v_fma_f64 v[44:45], v[10:11], s[18:19], -v[44:45]
	v_add_f64 v[22:23], v[22:23], v[30:31]
	v_fma_f64 v[30:31], v[10:11], s[6:7], v[8:9]
	v_add_f64 v[26:27], v[34:35], v[26:27]
	v_add_f64 v[28:29], v[28:29], v[36:37]
	v_fma_f64 v[8:9], v[10:11], s[6:7], -v[8:9]
	v_add_f64 v[10:11], v[38:39], v[32:33]
	v_fma_f64 v[32:33], v[2:3], s[18:19], v[6:7]
	v_mul_f64 v[34:35], v[0:1], s[20:21]
	v_mul_f64 v[36:37], v[0:1], s[34:35]
	v_add_f64 v[46:47], v[93:94], v[91:92]
	v_mul_f64 v[38:39], v[0:1], s[16:17]
	v_mul_f64 v[0:1], v[0:1], s[28:29]
	v_add_f64 v[8:9], v[8:9], v[16:17]
	v_add_f64 v[12:13], v[44:45], v[12:13]
	;; [unrolled: 1-line block ×3, first 2 shown]
	v_fma_f64 v[20:21], v[2:3], s[4:5], v[34:35]
	v_fma_f64 v[32:33], v[2:3], s[4:5], -v[34:35]
	v_fma_f64 v[34:35], v[2:3], s[14:15], v[36:37]
	v_add_f64 v[30:31], v[30:31], v[46:47]
	v_fma_f64 v[44:45], v[2:3], s[6:7], v[38:39]
	v_fma_f64 v[46:47], v[2:3], s[10:11], v[0:1]
	v_fma_f64 v[38:39], v[2:3], s[6:7], -v[38:39]
	v_fma_f64 v[0:1], v[2:3], s[10:11], -v[0:1]
	;; [unrolled: 1-line block ×4, first 2 shown]
	v_add_f64 v[4:5], v[20:21], v[4:5]
	v_add_f64 v[20:21], v[32:33], v[22:23]
	;; [unrolled: 1-line block ×9, first 2 shown]
	s_waitcnt lgkmcnt(0)
	; wave barrier
	s_waitcnt lgkmcnt(0)
	ds_write2_b64 v84, v[18:19], v[16:17] offset1:1
	ds_write2_b64 v84, v[4:5], v[22:23] offset0:2 offset1:3
	ds_write2_b64 v84, v[10:11], v[26:27] offset0:4 offset1:5
	;; [unrolled: 1-line block ×4, first 2 shown]
	ds_write_b64 v84, v[0:1] offset:80
	s_waitcnt lgkmcnt(0)
	; wave barrier
	s_waitcnt lgkmcnt(0)
	ds_read_b64 v[18:19], v65
	ds_read2_b64 v[4:7], v76 offset0:11 offset1:13
	ds_read2_b64 v[8:11], v76 offset0:15 offset1:17
	ds_read_b64 v[14:15], v78
	ds_read_b64 v[16:17], v85
	;; [unrolled: 1-line block ×4, first 2 shown]
	ds_read_b64 v[26:27], v76 offset:152
	v_mov_b32_e32 v12, 0
	v_mov_b32_e32 v13, 0
	s_and_saveexec_b64 s[4:5], s[0:1]
	s_cbranch_execz .LBB0_17
; %bb.16:
	ds_read2_b64 v[0:3], v62 offset0:10 offset1:21
	v_mov_b32_e32 v12, 10
	v_mov_b32_e32 v13, 0
.LBB0_17:
	s_or_b64 exec, exec, s[4:5]
	s_and_saveexec_b64 s[4:5], vcc
	s_cbranch_execz .LBB0_20
; %bb.18:
	v_mov_b32_e32 v62, 0
	v_lshlrev_b64 v[28:29], 4, v[61:62]
	v_mov_b32_e32 v65, v62
	v_mov_b32_e32 v13, s9
	v_add_co_u32_e32 v28, vcc, s8, v28
	v_lshlrev_b64 v[30:31], 4, v[64:65]
	v_addc_co_u32_e32 v29, vcc, v13, v29, vcc
	v_add_co_u32_e32 v38, vcc, s8, v30
	v_mov_b32_e32 v64, v62
	v_addc_co_u32_e32 v39, vcc, v13, v31, vcc
	global_load_dwordx4 v[30:33], v[28:29], off
	global_load_dwordx4 v[34:37], v[38:39], off
	v_lshlrev_b64 v[28:29], 4, v[63:64]
	v_lshlrev_b32_e32 v38, 4, v79
	v_add_co_u32_e32 v28, vcc, s8, v28
	v_addc_co_u32_e32 v29, vcc, v13, v29, vcc
	v_mov_b32_e32 v61, v62
	global_load_dwordx4 v[44:47], v38, s[8:9]
	global_load_dwordx4 v[84:87], v[28:29], off
	v_lshlrev_b64 v[28:29], 4, v[60:61]
	v_lshlrev_b64 v[38:39], 4, v[58:59]
	v_add_co_u32_e32 v28, vcc, s8, v28
	v_addc_co_u32_e32 v29, vcc, v13, v29, vcc
	global_load_dwordx4 v[60:63], v[28:29], off
	v_mad_u64_u32 v[58:59], s[4:5], s2, v83, 0
	v_add_u32_e32 v90, 13, v79
	v_mov_b32_e32 v13, s13
	v_add_u32_e32 v78, 11, v79
	v_add_co_u32_e32 v28, vcc, s12, v56
	v_mad_u64_u32 v[76:77], s[4:5], s2, v90, 0
	v_addc_co_u32_e32 v29, vcc, v13, v57, vcc
	v_mad_u64_u32 v[56:57], s[4:5], s2, v78, 0
	v_mov_b32_e32 v13, v59
	s_waitcnt lgkmcnt(4)
	v_mad_u64_u32 v[88:89], s[4:5], s3, v83, v[13:14]
	v_mov_b32_e32 v13, v77
	v_mad_u64_u32 v[77:78], s[4:5], s3, v78, v[57:58]
	v_mad_u64_u32 v[89:90], s[4:5], s3, v90, v[13:14]
	v_mov_b32_e32 v59, v88
	v_mov_b32_e32 v57, v77
	;; [unrolled: 1-line block ×3, first 2 shown]
	v_add_co_u32_e32 v38, vcc, v28, v38
	v_lshlrev_b64 v[58:59], 4, v[58:59]
	v_mad_u64_u32 v[64:65], s[4:5], s2, v82, 0
	v_addc_co_u32_e32 v39, vcc, v29, v39, vcc
	v_lshlrev_b64 v[56:57], 4, v[56:57]
	v_add_co_u32_e32 v58, vcc, v28, v58
	v_addc_co_u32_e32 v59, vcc, v29, v59, vcc
	v_add_co_u32_e32 v56, vcc, v28, v56
	v_addc_co_u32_e32 v57, vcc, v29, v57, vcc
	v_lshlrev_b64 v[76:77], 4, v[76:77]
	s_waitcnt vmcnt(4)
	v_mul_f64 v[90:91], v[74:75], v[32:33]
	s_waitcnt lgkmcnt(0)
	v_mul_f64 v[32:33], v[26:27], v[32:33]
	s_waitcnt vmcnt(3)
	v_mul_f64 v[92:93], v[54:55], v[36:37]
	v_mul_f64 v[36:37], v[10:11], v[36:37]
	s_waitcnt vmcnt(2)
	v_mul_f64 v[88:89], v[48:49], v[46:47]
	;; [unrolled: 3-line block ×3, first 2 shown]
	v_mul_f64 v[86:87], v[8:9], v[86:87]
	v_fma_f64 v[26:27], v[26:27], v[30:31], v[90:91]
	v_fma_f64 v[30:31], v[74:75], v[30:31], -v[32:33]
	v_fma_f64 v[32:33], v[10:11], v[34:35], v[92:93]
	s_waitcnt vmcnt(0)
	v_mul_f64 v[96:97], v[50:51], v[62:63]
	v_mul_f64 v[62:63], v[6:7], v[62:63]
	v_fma_f64 v[4:5], v[4:5], v[44:45], v[88:89]
	v_fma_f64 v[44:45], v[48:49], v[44:45], -v[46:47]
	v_fma_f64 v[46:47], v[54:55], v[34:35], -v[36:37]
	v_fma_f64 v[48:49], v[8:9], v[84:85], v[94:95]
	v_fma_f64 v[52:53], v[52:53], v[84:85], -v[86:87]
	v_add_f64 v[8:9], v[70:71], -v[30:31]
	v_fma_f64 v[34:35], v[6:7], v[60:61], v[96:97]
	v_fma_f64 v[50:51], v[50:51], v[60:61], -v[62:63]
	v_add_f64 v[6:7], v[18:19], -v[4:5]
	v_add_f64 v[4:5], v[68:69], -v[44:45]
	;; [unrolled: 1-line block ×8, first 2 shown]
	v_fma_f64 v[50:51], v[18:19], 2.0, -v[6:7]
	v_fma_f64 v[48:49], v[68:69], 2.0, -v[4:5]
	v_add_f64 v[32:33], v[16:17], -v[32:33]
	v_fma_f64 v[26:27], v[14:15], 2.0, -v[46:47]
	v_fma_f64 v[24:25], v[24:25], 2.0, -v[44:45]
	;; [unrolled: 1-line block ×5, first 2 shown]
	global_store_dwordx4 v[38:39], v[48:51], off
	global_store_dwordx4 v[56:57], v[4:7], off
	;; [unrolled: 1-line block ×3, first 2 shown]
	v_mov_b32_e32 v6, v65
	v_mad_u64_u32 v[6:7], s[4:5], s3, v82, v[6:7]
	v_add_u32_e32 v7, 15, v79
	v_mad_u64_u32 v[13:14], s[4:5], s2, v7, 0
	v_mov_b32_e32 v65, v6
	v_add_co_u32_e32 v4, vcc, v28, v76
	v_mov_b32_e32 v6, v14
	v_mad_u64_u32 v[6:7], s[4:5], s3, v7, v[6:7]
	v_addc_co_u32_e32 v5, vcc, v29, v77, vcc
	global_store_dwordx4 v[4:5], v[34:37], off
	v_lshlrev_b64 v[4:5], 4, v[64:65]
	v_mov_b32_e32 v14, v6
	v_mad_u64_u32 v[6:7], s[4:5], s2, v81, 0
	v_add_co_u32_e32 v4, vcc, v28, v4
	v_addc_co_u32_e32 v5, vcc, v29, v5, vcc
	global_store_dwordx4 v[4:5], v[24:27], off
	v_lshlrev_b64 v[4:5], 4, v[13:14]
	v_mad_u64_u32 v[13:14], s[4:5], s3, v81, v[7:8]
	v_add_u32_e32 v24, 17, v79
	v_mad_u64_u32 v[14:15], s[4:5], s2, v24, 0
	v_add_co_u32_e32 v4, vcc, v28, v4
	v_addc_co_u32_e32 v5, vcc, v29, v5, vcc
	v_mov_b32_e32 v7, v13
	global_store_dwordx4 v[4:5], v[44:47], off
	v_lshlrev_b64 v[4:5], 4, v[6:7]
	v_mov_b32_e32 v6, v15
	v_fma_f64 v[18:19], v[16:17], 2.0, -v[32:33]
	v_fma_f64 v[16:17], v[66:67], 2.0, -v[30:31]
	v_mad_u64_u32 v[6:7], s[4:5], s3, v24, v[6:7]
	v_add_co_u32_e32 v4, vcc, v28, v4
	v_mov_b32_e32 v15, v6
	v_mad_u64_u32 v[6:7], s[4:5], s2, v80, 0
	v_addc_co_u32_e32 v5, vcc, v29, v5, vcc
	global_store_dwordx4 v[4:5], v[16:19], off
	v_lshlrev_b64 v[4:5], 4, v[14:15]
	v_mad_u64_u32 v[13:14], s[4:5], s3, v80, v[7:8]
	v_add_u32_e32 v16, 19, v79
	v_mad_u64_u32 v[14:15], s[4:5], s2, v16, 0
	v_fma_f64 v[20:21], v[70:71], 2.0, -v[8:9]
	v_add_co_u32_e32 v4, vcc, v28, v4
	v_addc_co_u32_e32 v5, vcc, v29, v5, vcc
	v_mov_b32_e32 v7, v13
	global_store_dwordx4 v[4:5], v[30:33], off
	v_lshlrev_b64 v[4:5], 4, v[6:7]
	v_mov_b32_e32 v6, v15
	v_mad_u64_u32 v[6:7], s[4:5], s3, v16, v[6:7]
	v_add_co_u32_e32 v4, vcc, v28, v4
	v_addc_co_u32_e32 v5, vcc, v29, v5, vcc
	v_mov_b32_e32 v15, v6
	global_store_dwordx4 v[4:5], v[20:23], off
	v_lshlrev_b64 v[4:5], 4, v[14:15]
	v_add_co_u32_e32 v4, vcc, v28, v4
	v_addc_co_u32_e32 v5, vcc, v29, v5, vcc
	global_store_dwordx4 v[4:5], v[8:11], off
	s_and_b64 exec, exec, s[0:1]
	s_cbranch_execz .LBB0_20
; %bb.19:
	v_lshlrev_b32_e32 v4, 4, v12
	global_load_dwordx4 v[4:7], v4, s[8:9]
	v_mov_b32_e32 v10, 0xa0
	v_mov_b32_e32 v11, 0x150
	s_waitcnt vmcnt(0)
	v_mul_f64 v[8:9], v[2:3], v[6:7]
	v_mul_f64 v[6:7], v[42:43], v[6:7]
	v_fma_f64 v[8:9], v[42:43], v[4:5], -v[8:9]
	v_fma_f64 v[4:5], v[2:3], v[4:5], v[6:7]
	v_add_f64 v[2:3], v[40:41], -v[8:9]
	v_add_f64 v[4:5], v[0:1], -v[4:5]
	v_fma_f64 v[6:7], v[40:41], 2.0, -v[2:3]
	v_fma_f64 v[8:9], v[0:1], 2.0, -v[4:5]
	v_mad_u64_u32 v[0:1], s[0:1], s2, v10, v[28:29]
	v_mad_u64_u32 v[10:11], s[0:1], s2, v11, v[28:29]
	s_mul_i32 s0, s3, 0xa0
	s_mul_i32 s1, s3, 0x150
	v_add_u32_e32 v1, s0, v1
	v_add_u32_e32 v11, s1, v11
	global_store_dwordx4 v[0:1], v[6:9], off
	global_store_dwordx4 v[10:11], v[2:5], off
.LBB0_20:
	s_endpgm
	.section	.rodata,"a",@progbits
	.p2align	6, 0x0
	.amdhsa_kernel fft_rtc_fwd_len22_factors_11_2_wgs_64_tpt_2_halfLds_dp_ip_CI_sbrr_dirReg
		.amdhsa_group_segment_fixed_size 0
		.amdhsa_private_segment_fixed_size 0
		.amdhsa_kernarg_size 88
		.amdhsa_user_sgpr_count 6
		.amdhsa_user_sgpr_private_segment_buffer 1
		.amdhsa_user_sgpr_dispatch_ptr 0
		.amdhsa_user_sgpr_queue_ptr 0
		.amdhsa_user_sgpr_kernarg_segment_ptr 1
		.amdhsa_user_sgpr_dispatch_id 0
		.amdhsa_user_sgpr_flat_scratch_init 0
		.amdhsa_user_sgpr_private_segment_size 0
		.amdhsa_uses_dynamic_stack 0
		.amdhsa_system_sgpr_private_segment_wavefront_offset 0
		.amdhsa_system_sgpr_workgroup_id_x 1
		.amdhsa_system_sgpr_workgroup_id_y 0
		.amdhsa_system_sgpr_workgroup_id_z 0
		.amdhsa_system_sgpr_workgroup_info 0
		.amdhsa_system_vgpr_workitem_id 0
		.amdhsa_next_free_vgpr 125
		.amdhsa_next_free_sgpr 40
		.amdhsa_reserve_vcc 1
		.amdhsa_reserve_flat_scratch 0
		.amdhsa_float_round_mode_32 0
		.amdhsa_float_round_mode_16_64 0
		.amdhsa_float_denorm_mode_32 3
		.amdhsa_float_denorm_mode_16_64 3
		.amdhsa_dx10_clamp 1
		.amdhsa_ieee_mode 1
		.amdhsa_fp16_overflow 0
		.amdhsa_exception_fp_ieee_invalid_op 0
		.amdhsa_exception_fp_denorm_src 0
		.amdhsa_exception_fp_ieee_div_zero 0
		.amdhsa_exception_fp_ieee_overflow 0
		.amdhsa_exception_fp_ieee_underflow 0
		.amdhsa_exception_fp_ieee_inexact 0
		.amdhsa_exception_int_div_zero 0
	.end_amdhsa_kernel
	.text
.Lfunc_end0:
	.size	fft_rtc_fwd_len22_factors_11_2_wgs_64_tpt_2_halfLds_dp_ip_CI_sbrr_dirReg, .Lfunc_end0-fft_rtc_fwd_len22_factors_11_2_wgs_64_tpt_2_halfLds_dp_ip_CI_sbrr_dirReg
                                        ; -- End function
	.section	.AMDGPU.csdata,"",@progbits
; Kernel info:
; codeLenInByte = 5864
; NumSgprs: 44
; NumVgprs: 125
; ScratchSize: 0
; MemoryBound: 1
; FloatMode: 240
; IeeeMode: 1
; LDSByteSize: 0 bytes/workgroup (compile time only)
; SGPRBlocks: 5
; VGPRBlocks: 31
; NumSGPRsForWavesPerEU: 44
; NumVGPRsForWavesPerEU: 125
; Occupancy: 2
; WaveLimiterHint : 1
; COMPUTE_PGM_RSRC2:SCRATCH_EN: 0
; COMPUTE_PGM_RSRC2:USER_SGPR: 6
; COMPUTE_PGM_RSRC2:TRAP_HANDLER: 0
; COMPUTE_PGM_RSRC2:TGID_X_EN: 1
; COMPUTE_PGM_RSRC2:TGID_Y_EN: 0
; COMPUTE_PGM_RSRC2:TGID_Z_EN: 0
; COMPUTE_PGM_RSRC2:TIDIG_COMP_CNT: 0
	.type	__hip_cuid_134d20592a65e4a7,@object ; @__hip_cuid_134d20592a65e4a7
	.section	.bss,"aw",@nobits
	.globl	__hip_cuid_134d20592a65e4a7
__hip_cuid_134d20592a65e4a7:
	.byte	0                               ; 0x0
	.size	__hip_cuid_134d20592a65e4a7, 1

	.ident	"AMD clang version 19.0.0git (https://github.com/RadeonOpenCompute/llvm-project roc-6.4.0 25133 c7fe45cf4b819c5991fe208aaa96edf142730f1d)"
	.section	".note.GNU-stack","",@progbits
	.addrsig
	.addrsig_sym __hip_cuid_134d20592a65e4a7
	.amdgpu_metadata
---
amdhsa.kernels:
  - .args:
      - .actual_access:  read_only
        .address_space:  global
        .offset:         0
        .size:           8
        .value_kind:     global_buffer
      - .offset:         8
        .size:           8
        .value_kind:     by_value
      - .actual_access:  read_only
        .address_space:  global
        .offset:         16
        .size:           8
        .value_kind:     global_buffer
      - .actual_access:  read_only
        .address_space:  global
        .offset:         24
        .size:           8
        .value_kind:     global_buffer
      - .offset:         32
        .size:           8
        .value_kind:     by_value
      - .actual_access:  read_only
        .address_space:  global
        .offset:         40
        .size:           8
        .value_kind:     global_buffer
      - .actual_access:  read_only
        .address_space:  global
        .offset:         48
        .size:           8
        .value_kind:     global_buffer
      - .offset:         56
        .size:           4
        .value_kind:     by_value
      - .actual_access:  read_only
        .address_space:  global
        .offset:         64
        .size:           8
        .value_kind:     global_buffer
      - .actual_access:  read_only
        .address_space:  global
        .offset:         72
        .size:           8
        .value_kind:     global_buffer
      - .address_space:  global
        .offset:         80
        .size:           8
        .value_kind:     global_buffer
    .group_segment_fixed_size: 0
    .kernarg_segment_align: 8
    .kernarg_segment_size: 88
    .language:       OpenCL C
    .language_version:
      - 2
      - 0
    .max_flat_workgroup_size: 64
    .name:           fft_rtc_fwd_len22_factors_11_2_wgs_64_tpt_2_halfLds_dp_ip_CI_sbrr_dirReg
    .private_segment_fixed_size: 0
    .sgpr_count:     44
    .sgpr_spill_count: 0
    .symbol:         fft_rtc_fwd_len22_factors_11_2_wgs_64_tpt_2_halfLds_dp_ip_CI_sbrr_dirReg.kd
    .uniform_work_group_size: 1
    .uses_dynamic_stack: false
    .vgpr_count:     125
    .vgpr_spill_count: 0
    .wavefront_size: 64
amdhsa.target:   amdgcn-amd-amdhsa--gfx906
amdhsa.version:
  - 1
  - 2
...

	.end_amdgpu_metadata
